;; amdgpu-corpus repo=ROCm/rocFFT kind=compiled arch=gfx1030 opt=O3
	.text
	.amdgcn_target "amdgcn-amd-amdhsa--gfx1030"
	.amdhsa_code_object_version 6
	.protected	fft_rtc_fwd_len1620_factors_10_3_3_6_3_wgs_162_tpt_162_halfLds_half_op_CI_CI_unitstride_sbrr_C2R_dirReg ; -- Begin function fft_rtc_fwd_len1620_factors_10_3_3_6_3_wgs_162_tpt_162_halfLds_half_op_CI_CI_unitstride_sbrr_C2R_dirReg
	.globl	fft_rtc_fwd_len1620_factors_10_3_3_6_3_wgs_162_tpt_162_halfLds_half_op_CI_CI_unitstride_sbrr_C2R_dirReg
	.p2align	8
	.type	fft_rtc_fwd_len1620_factors_10_3_3_6_3_wgs_162_tpt_162_halfLds_half_op_CI_CI_unitstride_sbrr_C2R_dirReg,@function
fft_rtc_fwd_len1620_factors_10_3_3_6_3_wgs_162_tpt_162_halfLds_half_op_CI_CI_unitstride_sbrr_C2R_dirReg: ; @fft_rtc_fwd_len1620_factors_10_3_3_6_3_wgs_162_tpt_162_halfLds_half_op_CI_CI_unitstride_sbrr_C2R_dirReg
; %bb.0:
	s_clause 0x2
	s_load_dwordx4 s[12:15], s[4:5], 0x0
	s_load_dwordx4 s[8:11], s[4:5], 0x58
	;; [unrolled: 1-line block ×3, first 2 shown]
	v_mul_u32_u24_e32 v1, 0x195, v0
	v_mov_b32_e32 v8, 0
	v_mov_b32_e32 v6, 0
	;; [unrolled: 1-line block ×3, first 2 shown]
	v_add_nc_u32_sdwa v10, s6, v1 dst_sel:DWORD dst_unused:UNUSED_PAD src0_sel:DWORD src1_sel:WORD_1
	v_mov_b32_e32 v11, v8
	s_waitcnt lgkmcnt(0)
	v_cmp_lt_u64_e64 s0, s[14:15], 2
	s_and_b32 vcc_lo, exec_lo, s0
	s_cbranch_vccnz .LBB0_8
; %bb.1:
	s_load_dwordx2 s[0:1], s[4:5], 0x10
	v_mov_b32_e32 v6, 0
	v_mov_b32_e32 v7, 0
	s_add_u32 s2, s18, 8
	s_addc_u32 s3, s19, 0
	v_mov_b32_e32 v1, v6
	s_add_u32 s6, s16, 8
	v_mov_b32_e32 v2, v7
	s_addc_u32 s7, s17, 0
	s_mov_b64 s[22:23], 1
	s_waitcnt lgkmcnt(0)
	s_add_u32 s20, s0, 8
	s_addc_u32 s21, s1, 0
.LBB0_2:                                ; =>This Inner Loop Header: Depth=1
	s_load_dwordx2 s[24:25], s[20:21], 0x0
                                        ; implicit-def: $vgpr3_vgpr4
	s_mov_b32 s0, exec_lo
	s_waitcnt lgkmcnt(0)
	v_or_b32_e32 v9, s25, v11
	v_cmpx_ne_u64_e32 0, v[8:9]
	s_xor_b32 s1, exec_lo, s0
	s_cbranch_execz .LBB0_4
; %bb.3:                                ;   in Loop: Header=BB0_2 Depth=1
	v_cvt_f32_u32_e32 v3, s24
	v_cvt_f32_u32_e32 v4, s25
	s_sub_u32 s0, 0, s24
	s_subb_u32 s26, 0, s25
	v_fmac_f32_e32 v3, 0x4f800000, v4
	v_rcp_f32_e32 v3, v3
	v_mul_f32_e32 v3, 0x5f7ffffc, v3
	v_mul_f32_e32 v4, 0x2f800000, v3
	v_trunc_f32_e32 v4, v4
	v_fmac_f32_e32 v3, 0xcf800000, v4
	v_cvt_u32_f32_e32 v4, v4
	v_cvt_u32_f32_e32 v3, v3
	v_mul_lo_u32 v5, s0, v4
	v_mul_hi_u32 v9, s0, v3
	v_mul_lo_u32 v12, s26, v3
	v_add_nc_u32_e32 v5, v9, v5
	v_mul_lo_u32 v9, s0, v3
	v_add_nc_u32_e32 v5, v5, v12
	v_mul_hi_u32 v12, v3, v9
	v_mul_lo_u32 v13, v3, v5
	v_mul_hi_u32 v14, v3, v5
	v_mul_hi_u32 v15, v4, v9
	v_mul_lo_u32 v9, v4, v9
	v_mul_hi_u32 v16, v4, v5
	v_mul_lo_u32 v5, v4, v5
	v_add_co_u32 v12, vcc_lo, v12, v13
	v_add_co_ci_u32_e32 v13, vcc_lo, 0, v14, vcc_lo
	v_add_co_u32 v9, vcc_lo, v12, v9
	v_add_co_ci_u32_e32 v9, vcc_lo, v13, v15, vcc_lo
	v_add_co_ci_u32_e32 v12, vcc_lo, 0, v16, vcc_lo
	v_add_co_u32 v5, vcc_lo, v9, v5
	v_add_co_ci_u32_e32 v9, vcc_lo, 0, v12, vcc_lo
	v_add_co_u32 v3, vcc_lo, v3, v5
	v_add_co_ci_u32_e32 v4, vcc_lo, v4, v9, vcc_lo
	v_mul_hi_u32 v5, s0, v3
	v_mul_lo_u32 v12, s26, v3
	v_mul_lo_u32 v9, s0, v4
	v_add_nc_u32_e32 v5, v5, v9
	v_mul_lo_u32 v9, s0, v3
	v_add_nc_u32_e32 v5, v5, v12
	v_mul_hi_u32 v12, v3, v9
	v_mul_lo_u32 v13, v3, v5
	v_mul_hi_u32 v14, v3, v5
	v_mul_hi_u32 v15, v4, v9
	v_mul_lo_u32 v9, v4, v9
	v_mul_hi_u32 v16, v4, v5
	v_mul_lo_u32 v5, v4, v5
	v_add_co_u32 v12, vcc_lo, v12, v13
	v_add_co_ci_u32_e32 v13, vcc_lo, 0, v14, vcc_lo
	v_add_co_u32 v9, vcc_lo, v12, v9
	v_add_co_ci_u32_e32 v9, vcc_lo, v13, v15, vcc_lo
	v_add_co_ci_u32_e32 v12, vcc_lo, 0, v16, vcc_lo
	v_add_co_u32 v5, vcc_lo, v9, v5
	v_add_co_ci_u32_e32 v9, vcc_lo, 0, v12, vcc_lo
	v_add_co_u32 v5, vcc_lo, v3, v5
	v_add_co_ci_u32_e32 v9, vcc_lo, v4, v9, vcc_lo
	v_mul_hi_u32 v16, v10, v5
	v_mad_u64_u32 v[12:13], null, v11, v5, 0
	v_mad_u64_u32 v[3:4], null, v10, v9, 0
	;; [unrolled: 1-line block ×3, first 2 shown]
	v_add_co_u32 v3, vcc_lo, v16, v3
	v_add_co_ci_u32_e32 v4, vcc_lo, 0, v4, vcc_lo
	v_add_co_u32 v3, vcc_lo, v3, v12
	v_add_co_ci_u32_e32 v3, vcc_lo, v4, v13, vcc_lo
	v_add_co_ci_u32_e32 v4, vcc_lo, 0, v15, vcc_lo
	v_add_co_u32 v5, vcc_lo, v3, v14
	v_add_co_ci_u32_e32 v9, vcc_lo, 0, v4, vcc_lo
	v_mul_lo_u32 v12, s25, v5
	v_mad_u64_u32 v[3:4], null, s24, v5, 0
	v_mul_lo_u32 v13, s24, v9
	v_sub_co_u32 v3, vcc_lo, v10, v3
	v_add3_u32 v4, v4, v13, v12
	v_sub_nc_u32_e32 v12, v11, v4
	v_subrev_co_ci_u32_e64 v12, s0, s25, v12, vcc_lo
	v_add_co_u32 v13, s0, v5, 2
	v_add_co_ci_u32_e64 v14, s0, 0, v9, s0
	v_sub_co_u32 v15, s0, v3, s24
	v_sub_co_ci_u32_e32 v4, vcc_lo, v11, v4, vcc_lo
	v_subrev_co_ci_u32_e64 v12, s0, 0, v12, s0
	v_cmp_le_u32_e32 vcc_lo, s24, v15
	v_cmp_eq_u32_e64 s0, s25, v4
	v_cndmask_b32_e64 v15, 0, -1, vcc_lo
	v_cmp_le_u32_e32 vcc_lo, s25, v12
	v_cndmask_b32_e64 v16, 0, -1, vcc_lo
	v_cmp_le_u32_e32 vcc_lo, s24, v3
	;; [unrolled: 2-line block ×3, first 2 shown]
	v_cndmask_b32_e64 v17, 0, -1, vcc_lo
	v_cmp_eq_u32_e32 vcc_lo, s25, v12
	v_cndmask_b32_e64 v3, v17, v3, s0
	v_cndmask_b32_e32 v12, v16, v15, vcc_lo
	v_add_co_u32 v15, vcc_lo, v5, 1
	v_add_co_ci_u32_e32 v16, vcc_lo, 0, v9, vcc_lo
	v_cmp_ne_u32_e32 vcc_lo, 0, v12
	v_cndmask_b32_e32 v4, v16, v14, vcc_lo
	v_cndmask_b32_e32 v12, v15, v13, vcc_lo
	v_cmp_ne_u32_e32 vcc_lo, 0, v3
	v_cndmask_b32_e32 v4, v9, v4, vcc_lo
	v_cndmask_b32_e32 v3, v5, v12, vcc_lo
.LBB0_4:                                ;   in Loop: Header=BB0_2 Depth=1
	s_andn2_saveexec_b32 s0, s1
	s_cbranch_execz .LBB0_6
; %bb.5:                                ;   in Loop: Header=BB0_2 Depth=1
	v_cvt_f32_u32_e32 v3, s24
	s_sub_i32 s1, 0, s24
	v_rcp_iflag_f32_e32 v3, v3
	v_mul_f32_e32 v3, 0x4f7ffffe, v3
	v_cvt_u32_f32_e32 v3, v3
	v_mul_lo_u32 v4, s1, v3
	v_mul_hi_u32 v4, v3, v4
	v_add_nc_u32_e32 v3, v3, v4
	v_mul_hi_u32 v3, v10, v3
	v_mul_lo_u32 v4, v3, s24
	v_add_nc_u32_e32 v5, 1, v3
	v_sub_nc_u32_e32 v4, v10, v4
	v_subrev_nc_u32_e32 v9, s24, v4
	v_cmp_le_u32_e32 vcc_lo, s24, v4
	v_cndmask_b32_e32 v4, v4, v9, vcc_lo
	v_cndmask_b32_e32 v3, v3, v5, vcc_lo
	v_cmp_le_u32_e32 vcc_lo, s24, v4
	v_add_nc_u32_e32 v5, 1, v3
	v_mov_b32_e32 v4, v8
	v_cndmask_b32_e32 v3, v3, v5, vcc_lo
.LBB0_6:                                ;   in Loop: Header=BB0_2 Depth=1
	s_or_b32 exec_lo, exec_lo, s0
	v_mul_lo_u32 v5, v4, s24
	v_mul_lo_u32 v9, v3, s25
	s_load_dwordx2 s[0:1], s[6:7], 0x0
	v_mad_u64_u32 v[12:13], null, v3, s24, 0
	s_load_dwordx2 s[24:25], s[2:3], 0x0
	s_add_u32 s22, s22, 1
	s_addc_u32 s23, s23, 0
	s_add_u32 s2, s2, 8
	s_addc_u32 s3, s3, 0
	s_add_u32 s6, s6, 8
	v_add3_u32 v5, v13, v9, v5
	v_sub_co_u32 v9, vcc_lo, v10, v12
	s_addc_u32 s7, s7, 0
	s_add_u32 s20, s20, 8
	v_sub_co_ci_u32_e32 v5, vcc_lo, v11, v5, vcc_lo
	s_addc_u32 s21, s21, 0
	s_waitcnt lgkmcnt(0)
	v_mul_lo_u32 v10, s0, v5
	v_mul_lo_u32 v11, s1, v9
	v_mad_u64_u32 v[6:7], null, s0, v9, v[6:7]
	v_mul_lo_u32 v5, s24, v5
	v_mul_lo_u32 v12, s25, v9
	v_mad_u64_u32 v[1:2], null, s24, v9, v[1:2]
	v_cmp_ge_u64_e64 s0, s[22:23], s[14:15]
	v_add3_u32 v7, v11, v7, v10
	v_add3_u32 v2, v12, v2, v5
	s_and_b32 vcc_lo, exec_lo, s0
	s_cbranch_vccnz .LBB0_9
; %bb.7:                                ;   in Loop: Header=BB0_2 Depth=1
	v_mov_b32_e32 v11, v4
	v_mov_b32_e32 v10, v3
	s_branch .LBB0_2
.LBB0_8:
	v_mov_b32_e32 v1, v6
	v_mov_b32_e32 v3, v10
	;; [unrolled: 1-line block ×4, first 2 shown]
.LBB0_9:
	s_load_dwordx2 s[0:1], s[4:5], 0x28
	v_mul_hi_u32 v8, 0x1948b10, v0
	s_lshl_b64 s[2:3], s[14:15], 3
                                        ; implicit-def: $vgpr5
	s_add_u32 s4, s18, s2
	s_addc_u32 s5, s19, s3
	s_waitcnt lgkmcnt(0)
	v_cmp_gt_u64_e32 vcc_lo, s[0:1], v[3:4]
	v_cmp_le_u64_e64 s0, s[0:1], v[3:4]
	s_and_saveexec_b32 s1, s0
	s_xor_b32 s0, exec_lo, s1
; %bb.10:
	v_mul_u32_u24_e32 v5, 0xa2, v8
                                        ; implicit-def: $vgpr8
                                        ; implicit-def: $vgpr6_vgpr7
	v_sub_nc_u32_e32 v5, v0, v5
                                        ; implicit-def: $vgpr0
; %bb.11:
	s_or_saveexec_b32 s1, s0
	s_load_dwordx2 s[4:5], s[4:5], 0x0
	s_xor_b32 exec_lo, exec_lo, s1
	s_cbranch_execz .LBB0_15
; %bb.12:
	s_add_u32 s2, s16, s2
	s_addc_u32 s3, s17, s3
	v_lshlrev_b64 v[6:7], 2, v[6:7]
	s_load_dwordx2 s[2:3], s[2:3], 0x0
	s_waitcnt lgkmcnt(0)
	v_mul_lo_u32 v5, s3, v3
	v_mul_lo_u32 v11, s2, v4
	v_mad_u64_u32 v[9:10], null, s2, v3, 0
	s_mov_b32 s2, exec_lo
	v_add3_u32 v10, v10, v11, v5
	v_mul_u32_u24_e32 v5, 0xa2, v8
	v_lshlrev_b64 v[8:9], 2, v[9:10]
	v_sub_nc_u32_e32 v5, v0, v5
	v_lshlrev_b32_e32 v13, 2, v5
	v_add_co_u32 v0, s0, s8, v8
	v_add_co_ci_u32_e64 v8, s0, s9, v9, s0
	v_add_co_u32 v0, s0, v0, v6
	v_add_co_ci_u32_e64 v6, s0, v8, v7, s0
	;; [unrolled: 2-line block ×5, first 2 shown]
	s_clause 0x9
	global_load_dword v14, v[7:8], off
	global_load_dword v15, v[7:8], off offset:648
	global_load_dword v16, v[7:8], off offset:1296
	;; [unrolled: 1-line block ×9, first 2 shown]
	v_add_nc_u32_e32 v12, 0, v13
	v_add_nc_u32_e32 v13, 0x400, v12
	;; [unrolled: 1-line block ×5, first 2 shown]
	s_waitcnt vmcnt(8)
	ds_write2_b32 v12, v14, v15 offset1:162
	s_waitcnt vmcnt(6)
	ds_write2_b32 v13, v16, v7 offset0:68 offset1:230
	s_waitcnt vmcnt(4)
	ds_write2_b32 v19, v8, v17 offset0:8 offset1:170
	;; [unrolled: 2-line block ×4, first 2 shown]
	v_cmpx_eq_u32_e32 0xa1, v5
	s_cbranch_execz .LBB0_14
; %bb.13:
	v_add_co_u32 v5, s0, 0x1800, v0
	v_add_co_ci_u32_e64 v6, s0, 0, v6, s0
	global_load_dword v0, v[5:6], off offset:336
	v_mov_b32_e32 v6, 0
	v_mov_b32_e32 v5, 0xa1
	s_waitcnt vmcnt(0)
	ds_write_b32 v6, v0 offset:6480
.LBB0_14:
	s_or_b32 exec_lo, exec_lo, s2
.LBB0_15:
	s_or_b32 exec_lo, exec_lo, s1
	v_lshlrev_b32_e32 v6, 2, v5
	s_waitcnt lgkmcnt(0)
	s_barrier
	buffer_gl0_inv
	s_add_u32 s1, s12, 0x1928
	v_add_nc_u32_e32 v0, 0, v6
	v_sub_nc_u32_e32 v8, 0, v6
	s_addc_u32 s2, s13, 0
	s_mov_b32 s3, exec_lo
                                        ; implicit-def: $vgpr6_vgpr7
	ds_read_u16 v11, v0
	ds_read_u16 v12, v8 offset:6480
	s_waitcnt lgkmcnt(0)
	v_add_f16_e32 v10, v12, v11
	v_sub_f16_e32 v9, v11, v12
	v_cmpx_ne_u32_e32 0, v5
	s_xor_b32 s3, exec_lo, s3
	s_cbranch_execz .LBB0_17
; %bb.16:
	v_mov_b32_e32 v6, 0
	v_add_f16_e32 v13, v12, v11
	v_sub_f16_e32 v11, v11, v12
	v_lshlrev_b64 v[9:10], 2, v[5:6]
	v_add_co_u32 v9, s0, s1, v9
	v_add_co_ci_u32_e64 v10, s0, s2, v10, s0
	global_load_dword v7, v[9:10], off
	ds_read_u16 v9, v8 offset:6482
	ds_read_u16 v10, v0 offset:2
	s_waitcnt lgkmcnt(0)
	v_add_f16_e32 v12, v9, v10
	v_sub_f16_e32 v9, v10, v9
	s_waitcnt vmcnt(0)
	v_lshrrev_b32_e32 v14, 16, v7
	v_fma_f16 v15, -v11, v14, v13
	v_fma_f16 v16, v12, v14, -v9
	v_fma_f16 v9, v12, v14, v9
	v_fma_f16 v10, v11, v14, v13
	v_fmac_f16_e32 v15, v7, v12
	v_fmac_f16_e32 v16, v11, v7
	;; [unrolled: 1-line block ×3, first 2 shown]
	v_fma_f16 v10, -v7, v12, v10
	v_mov_b32_e32 v7, v6
	v_mov_b32_e32 v6, v5
	v_pack_b32_f16 v11, v15, v16
	ds_write_b32 v8, v11 offset:6480
.LBB0_17:
	s_andn2_saveexec_b32 s0, s3
	s_cbranch_execz .LBB0_19
; %bb.18:
	v_mov_b32_e32 v11, 0
	ds_read_b32 v6, v11 offset:3240
	s_waitcnt lgkmcnt(0)
	v_pk_mul_f16 v12, 0xc0004000, v6
	v_mov_b32_e32 v6, 0
	v_mov_b32_e32 v7, 0
	ds_write_b32 v11, v12 offset:3240
.LBB0_19:
	s_or_b32 exec_lo, exec_lo, s0
	v_lshlrev_b64 v[6:7], 2, v[6:7]
	v_add_nc_u32_e32 v18, 0x500, v0
	v_add_nc_u32_e32 v21, 0x1000, v0
	v_add_co_u32 v6, s0, s1, v6
	v_add_co_ci_u32_e64 v7, s0, s2, v7, s0
	s_clause 0x2
	global_load_dword v11, v[6:7], off offset:648
	global_load_dword v12, v[6:7], off offset:1296
	;; [unrolled: 1-line block ×3, first 2 shown]
	v_add_co_u32 v6, s0, 0x800, v6
	v_add_co_ci_u32_e64 v7, s0, 0, v7, s0
	v_cmp_gt_u32_e64 s0, 54, v5
	global_load_dword v6, v[6:7], off offset:544
	v_perm_b32 v7, v9, v10, 0x5040100
	ds_write_b32 v0, v7
	ds_read_b32 v7, v0 offset:648
	ds_read_b32 v9, v8 offset:5832
	s_waitcnt lgkmcnt(0)
	v_add_f16_e32 v10, v7, v9
	v_add_f16_sdwa v14, v9, v7 dst_sel:DWORD dst_unused:UNUSED_PAD src0_sel:WORD_1 src1_sel:WORD_1
	v_sub_f16_e32 v15, v7, v9
	v_sub_f16_sdwa v7, v7, v9 dst_sel:DWORD dst_unused:UNUSED_PAD src0_sel:WORD_1 src1_sel:WORD_1
	s_waitcnt vmcnt(3)
	v_lshrrev_b32_e32 v16, 16, v11
	v_fma_f16 v9, v15, v16, v10
	v_fma_f16 v17, v14, v16, v7
	v_fma_f16 v10, -v15, v16, v10
	v_fma_f16 v7, v14, v16, -v7
	v_fma_f16 v9, -v11, v14, v9
	v_fmac_f16_e32 v17, v15, v11
	v_fmac_f16_e32 v10, v11, v14
	v_fmac_f16_e32 v7, v15, v11
	v_pack_b32_f16 v9, v9, v17
	v_mad_u32_u24 v17, v5, 36, v0
	v_pack_b32_f16 v7, v10, v7
	s_waitcnt vmcnt(2)
	v_lshrrev_b32_e32 v10, 16, v12
	ds_write_b32 v0, v9 offset:648
	ds_write_b32 v8, v7 offset:5832
	ds_read_b32 v7, v0 offset:1296
	ds_read_b32 v9, v8 offset:5184
	s_waitcnt lgkmcnt(0)
	v_add_f16_e32 v11, v7, v9
	v_add_f16_sdwa v14, v9, v7 dst_sel:DWORD dst_unused:UNUSED_PAD src0_sel:WORD_1 src1_sel:WORD_1
	v_sub_f16_e32 v15, v7, v9
	v_sub_f16_sdwa v7, v7, v9 dst_sel:DWORD dst_unused:UNUSED_PAD src0_sel:WORD_1 src1_sel:WORD_1
	v_fma_f16 v9, v15, v10, v11
	v_fma_f16 v16, v14, v10, v7
	v_fma_f16 v11, -v15, v10, v11
	v_fma_f16 v7, v14, v10, -v7
	s_waitcnt vmcnt(1)
	v_lshrrev_b32_e32 v10, 16, v13
	v_fma_f16 v9, -v12, v14, v9
	v_fmac_f16_e32 v16, v15, v12
	v_fmac_f16_e32 v11, v12, v14
	;; [unrolled: 1-line block ×3, first 2 shown]
	v_pack_b32_f16 v9, v9, v16
	v_add_nc_u32_e32 v16, 0xa00, v0
	v_pack_b32_f16 v7, v11, v7
	ds_write_b32 v0, v9 offset:1296
	ds_write_b32 v8, v7 offset:5184
	ds_read_b32 v7, v0 offset:1944
	ds_read_b32 v9, v8 offset:4536
	s_waitcnt lgkmcnt(0)
	v_add_f16_e32 v11, v7, v9
	v_add_f16_sdwa v12, v9, v7 dst_sel:DWORD dst_unused:UNUSED_PAD src0_sel:WORD_1 src1_sel:WORD_1
	v_sub_f16_e32 v14, v7, v9
	v_sub_f16_sdwa v7, v7, v9 dst_sel:DWORD dst_unused:UNUSED_PAD src0_sel:WORD_1 src1_sel:WORD_1
	v_fma_f16 v9, v14, v10, v11
	v_fma_f16 v15, v12, v10, v7
	v_fma_f16 v11, -v14, v10, v11
	v_fma_f16 v7, v12, v10, -v7
	s_waitcnt vmcnt(0)
	v_lshrrev_b32_e32 v10, 16, v6
	v_fma_f16 v9, -v13, v12, v9
	v_fmac_f16_e32 v15, v14, v13
	v_fmac_f16_e32 v11, v13, v12
	;; [unrolled: 1-line block ×3, first 2 shown]
	v_pack_b32_f16 v9, v9, v15
	v_pack_b32_f16 v7, v11, v7
	ds_write_b32 v0, v9 offset:1944
	ds_write_b32 v8, v7 offset:4536
	ds_read_b32 v7, v0 offset:2592
	ds_read_b32 v9, v8 offset:3888
	s_waitcnt lgkmcnt(0)
	v_add_f16_e32 v11, v7, v9
	v_add_f16_sdwa v12, v9, v7 dst_sel:DWORD dst_unused:UNUSED_PAD src0_sel:WORD_1 src1_sel:WORD_1
	v_sub_f16_e32 v13, v7, v9
	v_sub_f16_sdwa v7, v7, v9 dst_sel:DWORD dst_unused:UNUSED_PAD src0_sel:WORD_1 src1_sel:WORD_1
	v_fma_f16 v9, v13, v10, v11
	v_fma_f16 v14, v12, v10, v7
	v_fma_f16 v11, -v13, v10, v11
	v_fma_f16 v7, v12, v10, -v7
	v_add_nc_u32_e32 v10, 0xe00, v0
	v_fma_f16 v9, -v6, v12, v9
	v_fmac_f16_e32 v14, v13, v6
	v_fmac_f16_e32 v11, v6, v12
	;; [unrolled: 1-line block ×3, first 2 shown]
	v_add_nc_u32_e32 v6, 0x400, v0
	v_add_nc_u32_e32 v12, 0x1400, v0
	v_pack_b32_f16 v9, v9, v14
	v_pack_b32_f16 v7, v11, v7
	ds_write_b32 v0, v9 offset:2592
	ds_write_b32 v8, v7 offset:3888
	s_waitcnt lgkmcnt(0)
	s_barrier
	buffer_gl0_inv
	s_barrier
	buffer_gl0_inv
	ds_read2_b32 v[6:7], v6 offset0:68 offset1:230
	ds_read2_b32 v[8:9], v16 offset0:8 offset1:170
	;; [unrolled: 1-line block ×4, first 2 shown]
	ds_read2_b32 v[14:15], v0 offset1:162
	s_waitcnt lgkmcnt(0)
	s_barrier
	buffer_gl0_inv
	v_sub_f16_e32 v24, v6, v8
	v_sub_f16_e32 v27, v8, v6
	;; [unrolled: 1-line block ×4, first 2 shown]
	v_add_f16_e32 v37, v9, v11
	v_sub_f16_sdwa v33, v6, v8 dst_sel:DWORD dst_unused:UNUSED_PAD src0_sel:WORD_1 src1_sel:WORD_1
	v_sub_f16_sdwa v34, v12, v10 dst_sel:DWORD dst_unused:UNUSED_PAD src0_sel:WORD_1 src1_sel:WORD_1
	v_add_f16_e32 v42, v7, v13
	v_add_f16_sdwa v46, v9, v11 dst_sel:DWORD dst_unused:UNUSED_PAD src0_sel:WORD_1 src1_sel:WORD_1
	v_lshrrev_b32_e32 v47, 16, v15
	v_add_f16_sdwa v52, v7, v13 dst_sel:DWORD dst_unused:UNUSED_PAD src0_sel:WORD_1 src1_sel:WORD_1
	v_pk_add_f16 v45, v15, v7
	v_add_f16_e32 v19, v8, v10
	v_add_f16_e32 v25, v6, v12
	v_pk_add_f16 v28, v14, v6
	v_add_f16_sdwa v29, v8, v10 dst_sel:DWORD dst_unused:UNUSED_PAD src0_sel:WORD_1 src1_sel:WORD_1
	v_lshrrev_b32_e32 v30, 16, v14
	v_add_f16_sdwa v35, v6, v12 dst_sel:DWORD dst_unused:UNUSED_PAD src0_sel:WORD_1 src1_sel:WORD_1
	v_sub_f16_sdwa v38, v7, v13 dst_sel:DWORD dst_unused:UNUSED_PAD src0_sel:WORD_1 src1_sel:WORD_1
	v_sub_f16_e32 v40, v13, v11
	v_sub_f16_e32 v41, v7, v9
	v_add_f16_e32 v23, v24, v23
	v_add_f16_e32 v24, v27, v26
	v_fma_f16 v27, -0.5, v37, v15
	v_sub_f16_sdwa v39, v9, v11 dst_sel:DWORD dst_unused:UNUSED_PAD src0_sel:WORD_1 src1_sel:WORD_1
	v_sub_f16_e32 v49, v9, v11
	v_add_f16_e32 v26, v33, v34
	v_fma_f16 v15, -0.5, v42, v15
	v_fma_f16 v33, -0.5, v46, v47
	v_fmac_f16_e32 v47, -0.5, v52
	v_sub_f16_e32 v44, v9, v7
	v_sub_f16_e32 v48, v7, v13
	v_sub_f16_sdwa v50, v7, v9 dst_sel:DWORD dst_unused:UNUSED_PAD src0_sel:WORD_1 src1_sel:WORD_1
	v_sub_f16_sdwa v7, v9, v7 dst_sel:DWORD dst_unused:UNUSED_PAD src0_sel:WORD_1 src1_sel:WORD_1
	v_pk_add_f16 v9, v45, v9
	v_sub_f16_sdwa v20, v6, v12 dst_sel:DWORD dst_unused:UNUSED_PAD src0_sel:WORD_1 src1_sel:WORD_1
	v_sub_f16_sdwa v22, v8, v10 dst_sel:DWORD dst_unused:UNUSED_PAD src0_sel:WORD_1 src1_sel:WORD_1
	v_sub_f16_e32 v31, v6, v12
	v_sub_f16_e32 v32, v8, v10
	v_sub_f16_sdwa v6, v8, v6 dst_sel:DWORD dst_unused:UNUSED_PAD src0_sel:WORD_1 src1_sel:WORD_1
	v_fma_f16 v19, -0.5, v19, v14
	v_fma_f16 v14, -0.5, v25, v14
	v_pk_add_f16 v8, v28, v8
	v_fma_f16 v25, -0.5, v29, v30
	v_fmac_f16_e32 v30, -0.5, v35
	v_add_f16_e32 v28, v41, v40
	v_fmamk_f16 v40, v38, 0x3b9c, v27
	v_sub_f16_e32 v43, v11, v13
	v_sub_f16_sdwa v53, v11, v13 dst_sel:DWORD dst_unused:UNUSED_PAD src0_sel:WORD_1 src1_sel:WORD_1
	v_fmamk_f16 v41, v39, 0xbb9c, v15
	v_fmac_f16_e32 v15, 0x3b9c, v39
	v_fmamk_f16 v42, v49, 0x3b9c, v47
	v_fmac_f16_e32 v47, 0xbb9c, v49
	v_sub_f16_sdwa v36, v10, v12 dst_sel:DWORD dst_unused:UNUSED_PAD src0_sel:WORD_1 src1_sel:WORD_1
	v_sub_f16_sdwa v51, v13, v11 dst_sel:DWORD dst_unused:UNUSED_PAD src0_sel:WORD_1 src1_sel:WORD_1
	v_fmac_f16_e32 v27, 0xbb9c, v38
	v_pk_add_f16 v9, v9, v11
	v_fmamk_f16 v11, v48, 0xbb9c, v33
	v_fmac_f16_e32 v33, 0x3b9c, v48
	v_pk_add_f16 v8, v8, v10
	v_fmamk_f16 v37, v32, 0x3b9c, v30
	v_fmac_f16_e32 v30, 0xbb9c, v32
	v_fmac_f16_e32 v40, 0x38b4, v39
	v_add_f16_e32 v29, v44, v43
	v_add_f16_e32 v7, v7, v53
	v_fmamk_f16 v35, v20, 0x3b9c, v19
	v_fmac_f16_e32 v19, 0xbb9c, v20
	v_fmac_f16_e32 v41, 0x38b4, v38
	v_fmac_f16_e32 v15, 0xb8b4, v38
	v_fmac_f16_e32 v42, 0xb8b4, v48
	v_fmac_f16_e32 v47, 0x38b4, v48
	v_add_f16_e32 v6, v6, v36
	v_add_f16_e32 v34, v50, v51
	v_fmamk_f16 v36, v22, 0xbb9c, v14
	v_fmac_f16_e32 v14, 0x3b9c, v22
	v_fmac_f16_e32 v27, 0xb8b4, v39
	;; [unrolled: 1-line block ×3, first 2 shown]
	v_fmamk_f16 v10, v31, 0xbb9c, v25
	v_pk_add_f16 v8, v8, v12
	v_fmac_f16_e32 v37, 0xb8b4, v31
	v_fmac_f16_e32 v30, 0x38b4, v31
	v_pk_add_f16 v9, v9, v13
	v_fmac_f16_e32 v11, 0xb8b4, v49
	v_fmac_f16_e32 v40, 0x34f2, v28
	;; [unrolled: 1-line block ×17, first 2 shown]
	v_pk_add_f16 v6, v8, v9
	v_pk_add_f16 v7, v8, v9 neg_lo:[0,1] neg_hi:[0,1]
	v_mul_f16_e32 v8, 0x3a79, v40
	v_mul_f16_e32 v20, 0xb8b4, v40
	v_fmac_f16_e32 v35, 0x34f2, v23
	v_fmac_f16_e32 v19, 0x34f2, v23
	v_mul_f16_e32 v9, 0x3b9c, v42
	v_mul_f16_e32 v12, 0x34f2, v15
	;; [unrolled: 1-line block ×4, first 2 shown]
	v_fmac_f16_e32 v25, 0x38b4, v32
	v_fmac_f16_e32 v36, 0x34f2, v24
	;; [unrolled: 1-line block ×3, first 2 shown]
	v_mul_f16_e32 v13, 0x3a79, v27
	v_mul_f16_e32 v24, 0x3a79, v33
	v_fmac_f16_e32 v10, 0x34f2, v26
	v_fmac_f16_e32 v8, 0x38b4, v11
	;; [unrolled: 1-line block ×4, first 2 shown]
	v_fma_f16 v12, v47, 0x3b9c, -v12
	v_fmac_f16_e32 v22, 0x34f2, v42
	v_fma_f16 v11, v15, 0xbb9c, -v23
	v_fmac_f16_e32 v25, 0x34f2, v26
	v_fma_f16 v13, v33, 0x38b4, -v13
	v_fma_f16 v15, v27, 0xb8b4, -v24
	v_add_f16_e32 v23, v35, v8
	v_add_f16_e32 v28, v10, v20
	;; [unrolled: 1-line block ×8, first 2 shown]
	v_sub_f16_e32 v8, v35, v8
	v_sub_f16_e32 v9, v36, v9
	;; [unrolled: 1-line block ×8, first 2 shown]
	v_pack_b32_f16 v14, v23, v28
	v_pack_b32_f16 v15, v26, v31
	;; [unrolled: 1-line block ×8, first 2 shown]
	ds_write2_b32 v17, v6, v14 offset1:1
	ds_write2_b32 v17, v22, v15 offset0:2 offset1:3
	ds_write2_b32 v17, v23, v7 offset0:4 offset1:5
	;; [unrolled: 1-line block ×4, first 2 shown]
	s_waitcnt lgkmcnt(0)
	s_barrier
	buffer_gl0_inv
	ds_read2_b32 v[8:9], v0 offset1:162
	ds_read2_b32 v[6:7], v18 offset0:4 offset1:220
	ds_read2_b32 v[12:13], v21 offset0:56 offset1:218
	;; [unrolled: 1-line block ×3, first 2 shown]
	ds_read_b32 v14, v0 offset:5616
                                        ; implicit-def: $vgpr22
                                        ; implicit-def: $vgpr15
                                        ; implicit-def: $vgpr24
                                        ; implicit-def: $vgpr23
	s_and_saveexec_b32 s1, s0
	s_cbranch_execz .LBB0_21
; %bb.20:
	ds_read_b32 v19, v0 offset:1944
	ds_read_b32 v15, v0 offset:6264
	;; [unrolled: 1-line block ×3, first 2 shown]
	s_waitcnt lgkmcnt(2)
	v_lshrrev_b32_e32 v20, 16, v19
	s_waitcnt lgkmcnt(1)
	v_lshrrev_b32_e32 v22, 16, v15
	;; [unrolled: 2-line block ×3, first 2 shown]
.LBB0_21:
	s_or_b32 exec_lo, exec_lo, s1
	v_and_b32_e32 v21, 0xff, v5
	v_add_nc_u32_e32 v18, 0xa2, v5
	v_mov_b32_e32 v25, 0xcccd
	v_add_nc_u32_e32 v17, 0x144, v5
	v_mov_b32_e32 v32, 3
	v_mul_lo_u16 v16, 0xcd, v21
	v_mov_b32_e32 v48, 0x78
	v_mul_u32_u24_sdwa v26, v18, v25 dst_sel:DWORD dst_unused:UNUSED_PAD src0_sel:WORD_0 src1_sel:DWORD
	v_mul_u32_u24_sdwa v27, v17, v25 dst_sel:DWORD dst_unused:UNUSED_PAD src0_sel:WORD_0 src1_sel:DWORD
	s_waitcnt lgkmcnt(3)
	v_lshrrev_b32_e32 v45, 16, v7
	v_lshrrev_b16 v36, 11, v16
	v_add_nc_u32_e32 v16, 0x1e6, v5
	v_lshrrev_b32_e32 v37, 19, v26
	v_lshrrev_b32_e32 v38, 19, v27
	s_waitcnt lgkmcnt(2)
	v_lshrrev_b32_e32 v46, 16, v12
	v_mul_lo_u16 v26, v36, 10
	v_mul_u32_u24_sdwa v25, v16, v25 dst_sel:DWORD dst_unused:UNUSED_PAD src0_sel:WORD_0 src1_sel:DWORD
	v_mul_lo_u16 v27, v37, 10
	v_mul_u32_u24_sdwa v36, v36, v48 dst_sel:DWORD dst_unused:UNUSED_PAD src0_sel:WORD_0 src1_sel:DWORD
	v_mul_u32_u24_e32 v37, 0x78, v37
	v_sub_nc_u16 v39, v5, v26
	v_lshrrev_b32_e32 v25, 19, v25
	v_mul_lo_u16 v26, v38, 10
	v_sub_nc_u16 v40, v18, v27
	v_mul_u32_u24_e32 v38, 0x78, v38
	v_lshlrev_b32_sdwa v27, v32, v39 dst_sel:DWORD dst_unused:UNUSED_PAD src0_sel:DWORD src1_sel:BYTE_0
	v_mul_lo_u16 v30, v25, 10
	v_sub_nc_u16 v41, v17, v26
	v_lshlrev_b32_sdwa v31, v32, v40 dst_sel:DWORD dst_unused:UNUSED_PAD src0_sel:DWORD src1_sel:WORD_0
	s_waitcnt lgkmcnt(1)
	v_lshrrev_b32_e32 v47, 16, v10
	global_load_dwordx2 v[28:29], v27, s[12:13]
	v_sub_nc_u16 v26, v16, v30
	v_lshrrev_b32_e32 v49, 16, v13
	global_load_dwordx2 v[30:31], v31, s[12:13]
	v_lshlrev_b32_sdwa v27, v32, v41 dst_sel:DWORD dst_unused:UNUSED_PAD src0_sel:DWORD src1_sel:WORD_0
	v_lshrrev_b32_e32 v50, 16, v11
	v_lshlrev_b32_sdwa v34, v32, v26 dst_sel:DWORD dst_unused:UNUSED_PAD src0_sel:DWORD src1_sel:WORD_0
	s_waitcnt lgkmcnt(0)
	v_lshrrev_b32_e32 v51, 16, v14
	v_lshrrev_b32_e32 v42, 16, v8
	s_clause 0x1
	global_load_dwordx2 v[32:33], v27, s[12:13]
	global_load_dwordx2 v[34:35], v34, s[12:13]
	v_mov_b32_e32 v27, 2
	v_lshrrev_b32_e32 v43, 16, v9
	v_lshrrev_b32_e32 v44, 16, v6
	s_waitcnt vmcnt(0)
	s_barrier
	v_lshlrev_b32_sdwa v39, v27, v39 dst_sel:DWORD dst_unused:UNUSED_PAD src0_sel:DWORD src1_sel:BYTE_0
	v_lshlrev_b32_sdwa v40, v27, v40 dst_sel:DWORD dst_unused:UNUSED_PAD src0_sel:DWORD src1_sel:WORD_0
	v_lshlrev_b32_sdwa v41, v27, v41 dst_sel:DWORD dst_unused:UNUSED_PAD src0_sel:DWORD src1_sel:WORD_0
	buffer_gl0_inv
	v_add3_u32 v36, 0, v36, v39
	v_add3_u32 v37, 0, v37, v40
	;; [unrolled: 1-line block ×3, first 2 shown]
	v_mul_f16_sdwa v39, v28, v45 dst_sel:DWORD dst_unused:UNUSED_PAD src0_sel:WORD_1 src1_sel:DWORD
	v_mul_f16_sdwa v40, v28, v7 dst_sel:DWORD dst_unused:UNUSED_PAD src0_sel:WORD_1 src1_sel:DWORD
	;; [unrolled: 1-line block ×8, first 2 shown]
	v_fmac_f16_e32 v40, v28, v45
	v_mul_f16_sdwa v56, v32, v50 dst_sel:DWORD dst_unused:UNUSED_PAD src0_sel:WORD_1 src1_sel:DWORD
	v_mul_f16_sdwa v57, v32, v11 dst_sel:DWORD dst_unused:UNUSED_PAD src0_sel:WORD_1 src1_sel:DWORD
	;; [unrolled: 1-line block ×4, first 2 shown]
	v_mul_f16_sdwa v60, v24, v34 dst_sel:DWORD dst_unused:UNUSED_PAD src0_sel:DWORD src1_sel:WORD_1
	v_mul_f16_sdwa v61, v23, v34 dst_sel:DWORD dst_unused:UNUSED_PAD src0_sel:DWORD src1_sel:WORD_1
	;; [unrolled: 1-line block ×4, first 2 shown]
	v_fmac_f16_e32 v48, v29, v46
	v_fma_f16 v7, v28, v7, -v39
	v_fma_f16 v12, v29, v12, -v41
	v_fma_f16 v13, v31, v13, -v54
	v_fmac_f16_e32 v53, v30, v47
	v_fma_f16 v10, v30, v10, -v52
	v_fmac_f16_e32 v55, v31, v49
	v_fma_f16 v11, v32, v11, -v56
	;; [unrolled: 2-line block ×5, first 2 shown]
	v_fmac_f16_e32 v63, v22, v35
	v_add_f16_e32 v24, v7, v12
	v_add_f16_e32 v30, v40, v48
	;; [unrolled: 1-line block ×4, first 2 shown]
	v_sub_f16_e32 v28, v40, v48
	v_add_f16_e32 v29, v42, v40
	v_add_f16_e32 v40, v11, v14
	;; [unrolled: 1-line block ×4, first 2 shown]
	v_sub_f16_e32 v7, v7, v12
	v_add_f16_e32 v49, v23, v15
	v_add_f16_e32 v52, v61, v63
	v_fma_f16 v8, -0.5, v24, v8
	v_fmac_f16_e32 v42, -0.5, v30
	v_add_f16_e32 v31, v9, v10
	v_sub_f16_e32 v33, v53, v55
	v_add_f16_e32 v34, v43, v53
	v_sub_f16_e32 v10, v10, v13
	v_fmac_f16_e32 v9, -0.5, v32
	v_fmac_f16_e32 v43, -0.5, v35
	v_add_f16_e32 v39, v6, v11
	v_sub_f16_e32 v41, v57, v59
	v_add_f16_e32 v45, v44, v57
	v_sub_f16_e32 v11, v11, v14
	v_fmac_f16_e32 v6, -0.5, v40
	v_fmac_f16_e32 v44, -0.5, v46
	v_add_f16_e32 v47, v19, v23
	v_sub_f16_e32 v50, v61, v63
	v_add_f16_e32 v51, v20, v61
	v_sub_f16_e32 v53, v23, v15
	v_add_f16_e32 v12, v22, v12
	v_add_f16_e32 v24, v29, v48
	v_fmac_f16_e32 v19, -0.5, v49
	v_fmac_f16_e32 v20, -0.5, v52
	v_fmamk_f16 v32, v28, 0x3aee, v8
	v_fmac_f16_e32 v8, 0xbaee, v28
	v_fmamk_f16 v28, v7, 0xbaee, v42
	v_fmac_f16_e32 v42, 0x3aee, v7
	v_add_f16_e32 v13, v31, v13
	v_add_f16_e32 v29, v34, v55
	v_fmamk_f16 v7, v33, 0x3aee, v9
	v_fmac_f16_e32 v9, 0xbaee, v33
	v_fmamk_f16 v33, v10, 0xbaee, v43
	v_fmac_f16_e32 v43, 0x3aee, v10
	v_add_f16_e32 v30, v39, v14
	v_add_f16_e32 v31, v45, v59
	v_fmamk_f16 v10, v41, 0x3aee, v6
	v_fmamk_f16 v34, v11, 0xbaee, v44
	v_add_f16_e32 v14, v47, v15
	v_add_f16_e32 v15, v51, v63
	v_fmac_f16_e32 v6, 0xbaee, v41
	v_fmac_f16_e32 v44, 0x3aee, v11
	v_fmamk_f16 v22, v50, 0x3aee, v19
	v_fmac_f16_e32 v19, 0xbaee, v50
	v_fmamk_f16 v23, v53, 0xbaee, v20
	v_fmac_f16_e32 v20, 0x3aee, v53
	v_pack_b32_f16 v11, v12, v24
	v_pack_b32_f16 v24, v32, v28
	;; [unrolled: 1-line block ×9, first 2 shown]
	ds_write2_b32 v36, v11, v24 offset1:10
	ds_write_b32 v36, v8 offset:80
	ds_write2_b32 v37, v12, v7 offset1:10
	ds_write_b32 v37, v9 offset:80
	;; [unrolled: 2-line block ×3, first 2 shown]
	s_and_saveexec_b32 s1, s0
	s_cbranch_execz .LBB0_23
; %bb.22:
	v_mul_lo_u16 v6, v25, 30
	v_lshlrev_b32_sdwa v7, v27, v26 dst_sel:DWORD dst_unused:UNUSED_PAD src0_sel:DWORD src1_sel:WORD_0
	v_perm_b32 v8, v15, v14, 0x5040100
	v_perm_b32 v9, v23, v22, 0x5040100
	v_lshlrev_b32_sdwa v6, v27, v6 dst_sel:DWORD dst_unused:UNUSED_PAD src0_sel:DWORD src1_sel:WORD_0
	v_add3_u32 v6, 0, v7, v6
	v_perm_b32 v7, v20, v19, 0x5040100
	ds_write2_b32 v6, v8, v9 offset1:10
	ds_write_b32 v6, v7 offset:80
.LBB0_23:
	s_or_b32 exec_lo, exec_lo, s1
	v_add_nc_u32_e32 v6, 0x500, v0
	v_add_nc_u32_e32 v10, 0x1000, v0
	;; [unrolled: 1-line block ×3, first 2 shown]
	s_waitcnt lgkmcnt(0)
	s_barrier
	buffer_gl0_inv
	ds_read2_b32 v[8:9], v0 offset1:162
	ds_read2_b32 v[6:7], v6 offset0:4 offset1:220
	ds_read2_b32 v[12:13], v10 offset0:56 offset1:218
	;; [unrolled: 1-line block ×3, first 2 shown]
	ds_read_b32 v24, v0 offset:5616
	s_and_saveexec_b32 s1, s0
	s_cbranch_execz .LBB0_25
; %bb.24:
	ds_read_b32 v14, v0 offset:1944
	ds_read_b32 v19, v0 offset:6264
	;; [unrolled: 1-line block ×3, first 2 shown]
	s_waitcnt lgkmcnt(2)
	v_lshrrev_b32_e32 v15, 16, v14
	s_waitcnt lgkmcnt(1)
	v_lshrrev_b32_e32 v20, 16, v19
	;; [unrolled: 2-line block ×3, first 2 shown]
.LBB0_25:
	s_or_b32 exec_lo, exec_lo, s1
	v_mul_lo_u16 v21, 0x89, v21
	v_mov_b32_e32 v25, 0x8889
	v_mov_b32_e32 v27, 3
	v_mov_b32_e32 v45, 0x168
	s_waitcnt lgkmcnt(3)
	v_lshrrev_b32_e32 v44, 16, v7
	v_lshrrev_b16 v36, 12, v21
	v_mul_u32_u24_sdwa v21, v18, v25 dst_sel:DWORD dst_unused:UNUSED_PAD src0_sel:WORD_0 src1_sel:DWORD
	v_mul_u32_u24_sdwa v28, v17, v25 dst_sel:DWORD dst_unused:UNUSED_PAD src0_sel:WORD_0 src1_sel:DWORD
	s_waitcnt lgkmcnt(2)
	v_lshrrev_b32_e32 v46, 16, v12
	s_waitcnt lgkmcnt(1)
	v_lshrrev_b32_e32 v47, 16, v10
	v_mul_lo_u16 v26, v36, 30
	v_lshrrev_b32_e32 v37, 20, v21
	v_mul_u32_u24_sdwa v21, v16, v25 dst_sel:DWORD dst_unused:UNUSED_PAD src0_sel:WORD_0 src1_sel:DWORD
	v_lshrrev_b32_e32 v39, 20, v28
	v_mul_u32_u24_sdwa v36, v36, v45 dst_sel:DWORD dst_unused:UNUSED_PAD src0_sel:WORD_0 src1_sel:DWORD
	v_sub_nc_u16 v38, v5, v26
	v_mul_lo_u16 v26, v37, 30
	v_lshrrev_b32_e32 v25, 20, v21
	v_mul_lo_u16 v21, v39, 30
	v_mul_u32_u24_e32 v37, 0x168, v37
	v_lshlrev_b32_sdwa v28, v27, v38 dst_sel:DWORD dst_unused:UNUSED_PAD src0_sel:DWORD src1_sel:BYTE_0
	v_sub_nc_u16 v40, v18, v26
	v_mul_lo_u16 v26, v25, 30
	v_sub_nc_u16 v41, v17, v21
	v_lshrrev_b32_e32 v48, 16, v13
	global_load_dwordx2 v[28:29], v28, s[12:13] offset:80
	v_lshlrev_b32_sdwa v21, v27, v40 dst_sel:DWORD dst_unused:UNUSED_PAD src0_sel:DWORD src1_sel:WORD_0
	v_sub_nc_u16 v26, v16, v26
	v_lshlrev_b32_sdwa v32, v27, v41 dst_sel:DWORD dst_unused:UNUSED_PAD src0_sel:DWORD src1_sel:WORD_0
	v_mul_u32_u24_e32 v39, 0x168, v39
	v_lshrrev_b32_e32 v45, 16, v11
	global_load_dwordx2 v[30:31], v21, s[12:13] offset:80
	v_lshlrev_b32_sdwa v21, v27, v26 dst_sel:DWORD dst_unused:UNUSED_PAD src0_sel:DWORD src1_sel:WORD_0
	v_mov_b32_e32 v27, 2
	s_clause 0x1
	global_load_dwordx2 v[32:33], v32, s[12:13] offset:80
	global_load_dwordx2 v[34:35], v21, s[12:13] offset:80
	s_waitcnt lgkmcnt(0)
	v_lshrrev_b32_e32 v49, 16, v24
	v_lshlrev_b32_sdwa v38, v27, v38 dst_sel:DWORD dst_unused:UNUSED_PAD src0_sel:DWORD src1_sel:BYTE_0
	v_lshrrev_b32_e32 v42, 16, v8
	v_lshrrev_b32_e32 v43, 16, v9
	;; [unrolled: 1-line block ×3, first 2 shown]
	s_waitcnt vmcnt(0)
	v_add3_u32 v36, 0, v36, v38
	v_lshlrev_b32_sdwa v38, v27, v40 dst_sel:DWORD dst_unused:UNUSED_PAD src0_sel:DWORD src1_sel:WORD_0
	v_lshlrev_b32_sdwa v40, v27, v41 dst_sel:DWORD dst_unused:UNUSED_PAD src0_sel:DWORD src1_sel:WORD_0
	s_barrier
	buffer_gl0_inv
	v_add3_u32 v37, 0, v37, v38
	v_add3_u32 v39, 0, v39, v40
	v_mul_f16_sdwa v38, v28, v44 dst_sel:DWORD dst_unused:UNUSED_PAD src0_sel:WORD_1 src1_sel:DWORD
	v_mul_f16_sdwa v41, v28, v7 dst_sel:DWORD dst_unused:UNUSED_PAD src0_sel:WORD_1 src1_sel:DWORD
	;; [unrolled: 1-line block ×4, first 2 shown]
	v_fma_f16 v7, v28, v7, -v38
	v_fmac_f16_e32 v41, v28, v44
	v_fma_f16 v12, v29, v12, -v50
	v_fmac_f16_e32 v51, v29, v46
	v_mul_f16_sdwa v28, v30, v47 dst_sel:DWORD dst_unused:UNUSED_PAD src0_sel:WORD_1 src1_sel:DWORD
	v_mul_f16_sdwa v29, v30, v10 dst_sel:DWORD dst_unused:UNUSED_PAD src0_sel:WORD_1 src1_sel:DWORD
	;; [unrolled: 1-line block ×4, first 2 shown]
	v_mul_f16_sdwa v54, v22, v34 dst_sel:DWORD dst_unused:UNUSED_PAD src0_sel:DWORD src1_sel:WORD_1
	v_mul_f16_sdwa v56, v19, v35 dst_sel:DWORD dst_unused:UNUSED_PAD src0_sel:DWORD src1_sel:WORD_1
	v_mul_f16_sdwa v44, v32, v45 dst_sel:DWORD dst_unused:UNUSED_PAD src0_sel:WORD_1 src1_sel:DWORD
	v_mul_f16_sdwa v46, v32, v11 dst_sel:DWORD dst_unused:UNUSED_PAD src0_sel:WORD_1 src1_sel:DWORD
	;; [unrolled: 1-line block ×4, first 2 shown]
	v_mul_f16_sdwa v53, v23, v34 dst_sel:DWORD dst_unused:UNUSED_PAD src0_sel:DWORD src1_sel:WORD_1
	v_mul_f16_sdwa v55, v20, v35 dst_sel:DWORD dst_unused:UNUSED_PAD src0_sel:DWORD src1_sel:WORD_1
	v_fma_f16 v10, v30, v10, -v28
	v_fmac_f16_e32 v29, v30, v47
	v_fma_f16 v13, v31, v13, -v38
	v_fmac_f16_e32 v40, v31, v48
	v_fmac_f16_e32 v54, v23, v34
	;; [unrolled: 1-line block ×3, first 2 shown]
	v_add_f16_e32 v20, v8, v7
	v_add_f16_e32 v23, v7, v12
	;; [unrolled: 1-line block ×4, first 2 shown]
	v_fma_f16 v11, v32, v11, -v44
	v_fmac_f16_e32 v46, v32, v45
	v_fma_f16 v24, v33, v24, -v50
	v_fmac_f16_e32 v52, v33, v49
	v_fma_f16 v22, v22, v34, -v53
	v_fma_f16 v19, v19, v35, -v55
	v_sub_f16_e32 v28, v41, v51
	v_sub_f16_e32 v7, v7, v12
	v_add_f16_e32 v12, v20, v12
	v_fma_f16 v23, -0.5, v23, v8
	v_add_f16_e32 v20, v30, v51
	v_fmac_f16_e32 v42, -0.5, v31
	v_add_f16_e32 v30, v10, v13
	v_sub_f16_e32 v31, v29, v40
	v_add_f16_e32 v32, v43, v29
	v_add_f16_e32 v29, v29, v40
	;; [unrolled: 1-line block ×7, first 2 shown]
	v_sub_f16_e32 v33, v10, v13
	v_add_f16_e32 v10, v6, v11
	v_fmamk_f16 v49, v28, 0x3aee, v23
	v_fmac_f16_e32 v23, 0xbaee, v28
	v_fmamk_f16 v28, v7, 0xbaee, v42
	v_fmac_f16_e32 v9, -0.5, v30
	v_fmac_f16_e32 v43, -0.5, v29
	v_sub_f16_e32 v35, v46, v52
	v_add_f16_e32 v38, v21, v46
	v_sub_f16_e32 v44, v11, v24
	v_fmac_f16_e32 v6, -0.5, v34
	v_fmac_f16_e32 v21, -0.5, v41
	v_add_f16_e32 v11, v14, v22
	v_sub_f16_e32 v46, v54, v56
	v_add_f16_e32 v47, v15, v54
	v_sub_f16_e32 v22, v22, v19
	v_fmac_f16_e32 v42, 0x3aee, v7
	v_fmac_f16_e32 v14, -0.5, v45
	v_fmac_f16_e32 v15, -0.5, v48
	v_add_f16_e32 v50, v8, v13
	v_add_f16_e32 v30, v32, v40
	v_add_f16_e32 v7, v10, v24
	v_pack_b32_f16 v24, v12, v20
	v_fmamk_f16 v29, v31, 0x3aee, v9
	v_fmac_f16_e32 v9, 0xbaee, v31
	v_fmamk_f16 v31, v33, 0xbaee, v43
	v_pack_b32_f16 v28, v49, v28
	v_fmac_f16_e32 v43, 0x3aee, v33
	v_add_f16_e32 v8, v38, v52
	v_fmamk_f16 v13, v35, 0x3aee, v6
	v_fmamk_f16 v20, v44, 0xbaee, v21
	v_fmac_f16_e32 v6, 0xbaee, v35
	v_fmac_f16_e32 v21, 0x3aee, v44
	v_add_f16_e32 v10, v11, v19
	v_add_f16_e32 v11, v47, v56
	v_fmamk_f16 v12, v46, 0x3aee, v14
	v_fmac_f16_e32 v14, 0xbaee, v46
	v_fmamk_f16 v19, v22, 0xbaee, v15
	v_fmac_f16_e32 v15, 0x3aee, v22
	v_pack_b32_f16 v22, v23, v42
	v_pack_b32_f16 v23, v50, v30
	ds_write2_b32 v36, v24, v28 offset1:30
	v_pack_b32_f16 v24, v29, v31
	v_pack_b32_f16 v9, v9, v43
	;; [unrolled: 1-line block ×5, first 2 shown]
	ds_write_b32 v36, v22 offset:240
	ds_write2_b32 v37, v23, v24 offset1:30
	ds_write_b32 v37, v9 offset:240
	ds_write2_b32 v39, v30, v28 offset1:30
	ds_write_b32 v39, v29 offset:240
	s_and_saveexec_b32 s1, s0
	s_cbranch_execz .LBB0_27
; %bb.26:
	v_mul_lo_u16 v9, 0x5a, v25
	v_lshlrev_b32_sdwa v22, v27, v26 dst_sel:DWORD dst_unused:UNUSED_PAD src0_sel:DWORD src1_sel:WORD_0
	v_perm_b32 v23, v11, v10, 0x5040100
	v_perm_b32 v24, v19, v12, 0x5040100
	v_lshlrev_b32_sdwa v9, v27, v9 dst_sel:DWORD dst_unused:UNUSED_PAD src0_sel:DWORD src1_sel:WORD_0
	v_add3_u32 v9, 0, v22, v9
	v_perm_b32 v22, v15, v14, 0x5040100
	ds_write2_b32 v9, v23, v24 offset1:30
	ds_write_b32 v9, v22 offset:240
.LBB0_27:
	s_or_b32 exec_lo, exec_lo, s1
	s_waitcnt lgkmcnt(0)
	s_barrier
	buffer_gl0_inv
	ds_read_b32 v9, v0
	ds_read_b32 v28, v0 offset:1080
	ds_read_b32 v27, v0 offset:2160
	;; [unrolled: 1-line block ×5, first 2 shown]
	v_cmp_gt_u32_e64 s1, 0x6c, v5
	s_and_saveexec_b32 s2, s1
	s_cbranch_execz .LBB0_29
; %bb.28:
	ds_read_b32 v7, v0 offset:648
	ds_read_b32 v10, v0 offset:3888
	;; [unrolled: 1-line block ×6, first 2 shown]
	s_waitcnt lgkmcnt(5)
	v_lshrrev_b32_e32 v8, 16, v7
	s_waitcnt lgkmcnt(4)
	v_lshrrev_b32_e32 v11, 16, v10
	;; [unrolled: 2-line block ×6, first 2 shown]
.LBB0_29:
	s_or_b32 exec_lo, exec_lo, s2
	v_add_nc_u32_e32 v25, 0xffffffa6, v5
	v_cmp_gt_u32_e64 s2, 0x5a, v5
	v_mov_b32_e32 v29, 0x2d83
	v_mov_b32_e32 v26, 0
	;; [unrolled: 1-line block ×3, first 2 shown]
	s_waitcnt lgkmcnt(4)
	v_lshrrev_b32_e32 v42, 16, v28
	v_cndmask_b32_e64 v37, v25, v5, s2
	v_mul_u32_u24_sdwa v31, v18, v29 dst_sel:DWORD dst_unused:UNUSED_PAD src0_sel:WORD_0 src1_sel:DWORD
	s_waitcnt lgkmcnt(2)
	v_lshrrev_b32_e32 v43, 16, v24
	s_waitcnt lgkmcnt(0)
	v_lshrrev_b32_e32 v45, 16, v22
	v_lshrrev_b32_e32 v44, 16, v23
	v_mul_i32_i24_e32 v25, 5, v37
	v_lshlrev_b32_e32 v37, 2, v37
	v_lshrrev_b32_e32 v41, 16, v9
	v_lshlrev_b64 v[29:30], 2, v[25:26]
	v_lshrrev_b32_e32 v25, 20, v31
	v_mul_lo_u16 v26, 0x5a, v25
	v_add_co_u32 v33, s2, s12, v29
	v_add_co_ci_u32_e64 v34, s2, s13, v30, s2
	v_sub_nc_u16 v26, v18, v26
	v_cmp_lt_u32_e64 s2, 0x59, v5
	s_clause 0x1
	global_load_dwordx4 v[29:32], v[33:34], off offset:320
	global_load_dword v38, v[33:34], off offset:336
	v_mul_u32_u24_sdwa v33, v26, v35 dst_sel:DWORD dst_unused:UNUSED_PAD src0_sel:WORD_0 src1_sel:DWORD
	v_cndmask_b32_e64 v40, 0, 0x870, s2
	v_lshlrev_b32_e32 v39, 2, v33
	v_add3_u32 v37, 0, v40, v37
	v_lshrrev_b32_e32 v40, 16, v27
	s_clause 0x1
	global_load_dwordx4 v[33:36], v39, s[12:13] offset:320
	global_load_dword v39, v39, s[12:13] offset:336
	v_add_nc_u32_e32 v46, 0x200, v37
	v_add_nc_u32_e32 v47, 0x400, v37
	s_waitcnt vmcnt(0)
	s_barrier
	buffer_gl0_inv
	v_mul_f16_sdwa v48, v29, v42 dst_sel:DWORD dst_unused:UNUSED_PAD src0_sel:WORD_1 src1_sel:DWORD
	v_mul_f16_sdwa v49, v29, v28 dst_sel:DWORD dst_unused:UNUSED_PAD src0_sel:WORD_1 src1_sel:DWORD
	;; [unrolled: 1-line block ×10, first 2 shown]
	v_fma_f16 v28, v29, v28, -v48
	v_fmac_f16_e32 v49, v29, v42
	v_fma_f16 v27, v30, v27, -v50
	v_fmac_f16_e32 v51, v30, v40
	v_fma_f16 v24, v31, v24, -v52
	v_fmac_f16_e32 v53, v31, v43
	v_fmac_f16_e32 v55, v32, v44
	v_fma_f16 v22, v38, v22, -v56
	v_fmac_f16_e32 v57, v38, v45
	v_mul_f16_sdwa v31, v21, v34 dst_sel:DWORD dst_unused:UNUSED_PAD src0_sel:DWORD src1_sel:WORD_1
	v_mul_f16_sdwa v38, v11, v35 dst_sel:DWORD dst_unused:UNUSED_PAD src0_sel:DWORD src1_sel:WORD_1
	;; [unrolled: 1-line block ×6, first 2 shown]
	v_fma_f16 v23, v32, v23, -v54
	v_mul_f16_sdwa v29, v20, v33 dst_sel:DWORD dst_unused:UNUSED_PAD src0_sel:DWORD src1_sel:WORD_1
	v_mul_f16_sdwa v30, v13, v33 dst_sel:DWORD dst_unused:UNUSED_PAD src0_sel:DWORD src1_sel:WORD_1
	;; [unrolled: 1-line block ×4, first 2 shown]
	v_add_f16_e32 v48, v9, v27
	v_sub_f16_e32 v52, v51, v55
	v_add_f16_e32 v54, v41, v51
	v_add_f16_e32 v51, v51, v55
	;; [unrolled: 1-line block ×4, first 2 shown]
	v_sub_f16_e32 v59, v53, v57
	v_add_f16_e32 v60, v49, v53
	v_add_f16_e32 v53, v53, v57
	v_fma_f16 v6, v6, v34, -v31
	v_fma_f16 v10, v10, v35, -v38
	v_fmac_f16_e32 v40, v11, v35
	v_fma_f16 v11, v12, v36, -v42
	v_fma_f16 v12, v14, v39, -v44
	v_fmac_f16_e32 v45, v15, v39
	v_add_f16_e32 v50, v27, v23
	v_sub_f16_e32 v27, v27, v23
	v_sub_f16_e32 v24, v24, v22
	v_fma_f16 v61, v13, v33, -v29
	v_fmac_f16_e32 v30, v20, v33
	v_fmac_f16_e32 v32, v21, v34
	v_fmac_f16_e32 v43, v19, v36
	v_add_f16_e32 v13, v48, v23
	v_add_f16_e32 v14, v54, v55
	v_fmac_f16_e32 v41, -0.5, v51
	v_add_f16_e32 v15, v56, v22
	v_fmac_f16_e32 v28, -0.5, v58
	;; [unrolled: 2-line block ×3, first 2 shown]
	v_add_f16_e32 v21, v6, v11
	v_add_f16_e32 v33, v10, v12
	;; [unrolled: 1-line block ×4, first 2 shown]
	v_sub_f16_e32 v22, v32, v43
	v_add_f16_e32 v23, v8, v32
	v_add_f16_e32 v29, v32, v43
	v_add_f16_e32 v32, v61, v10
	v_sub_f16_e32 v34, v40, v45
	v_add_f16_e32 v35, v30, v40
	v_sub_f16_e32 v38, v10, v12
	v_fmamk_f16 v40, v27, 0xbaee, v41
	v_fmac_f16_e32 v41, 0x3aee, v27
	v_fmamk_f16 v27, v59, 0x3aee, v28
	v_fmac_f16_e32 v28, 0xbaee, v59
	;; [unrolled: 2-line block ×3, first 2 shown]
	v_add_f16_e32 v24, v13, v15
	v_add_f16_e32 v44, v14, v19
	v_sub_f16_e32 v13, v13, v15
	v_sub_f16_e32 v14, v14, v19
	v_fmac_f16_e32 v7, -0.5, v21
	v_fmac_f16_e32 v61, -0.5, v33
	;; [unrolled: 1-line block ×4, first 2 shown]
	v_sub_f16_e32 v31, v6, v11
	v_add_f16_e32 v6, v20, v11
	v_add_f16_e32 v10, v23, v43
	;; [unrolled: 1-line block ×4, first 2 shown]
	v_mul_f16_e32 v21, 0x3aee, v42
	v_mul_f16_e32 v23, -0.5, v28
	v_mul_f16_e32 v32, 0xbaee, v27
	v_mul_f16_e32 v33, -0.5, v49
	v_pack_b32_f16 v35, v24, v44
	v_pack_b32_f16 v36, v13, v14
	v_fmamk_f16 v13, v22, 0x3aee, v7
	v_fmac_f16_e32 v7, 0xbaee, v22
	v_fmamk_f16 v22, v34, 0x3aee, v61
	v_fmac_f16_e32 v61, 0xbaee, v34
	;; [unrolled: 2-line block ×4, first 2 shown]
	v_fmac_f16_e32 v8, -0.5, v29
	v_fmac_f16_e32 v21, 0.5, v27
	v_fmac_f16_e32 v23, 0x3aee, v49
	v_fmac_f16_e32 v32, 0.5, v42
	v_fmac_f16_e32 v33, 0xbaee, v28
	v_mul_f16_e32 v15, 0x3aee, v24
	v_mul_f16_e32 v27, -0.5, v61
	v_mul_f16_e32 v28, 0xbaee, v22
	v_mul_f16_e32 v29, -0.5, v30
	v_fmamk_f16 v14, v31, 0xbaee, v8
	v_fmac_f16_e32 v8, 0x3aee, v31
	v_add_f16_e32 v31, v39, v21
	v_add_f16_e32 v34, v9, v23
	;; [unrolled: 1-line block ×3, first 2 shown]
	v_sub_f16_e32 v21, v39, v21
	v_sub_f16_e32 v9, v9, v23
	;; [unrolled: 1-line block ×3, first 2 shown]
	v_fmac_f16_e32 v15, 0.5, v22
	v_fmac_f16_e32 v27, 0x3aee, v30
	v_fmac_f16_e32 v28, 0.5, v24
	v_fmac_f16_e32 v29, 0xbaee, v61
	v_add_f16_e32 v42, v41, v33
	v_sub_f16_e32 v32, v41, v33
	v_sub_f16_e32 v19, v6, v11
	;; [unrolled: 1-line block ×3, first 2 shown]
	v_pack_b32_f16 v30, v31, v38
	v_pack_b32_f16 v33, v21, v23
	v_sub_f16_e32 v22, v13, v15
	v_sub_f16_e32 v21, v7, v27
	;; [unrolled: 1-line block ×4, first 2 shown]
	v_pack_b32_f16 v31, v34, v42
	v_pack_b32_f16 v9, v9, v32
	ds_write2_b32 v37, v35, v30 offset1:90
	ds_write2_b32 v46, v31, v36 offset0:52 offset1:142
	ds_write2_b32 v47, v33, v9 offset0:104 offset1:194
	s_and_saveexec_b32 s2, s1
	s_cbranch_execz .LBB0_31
; %bb.30:
	v_mov_b32_e32 v9, 2
	v_mul_lo_u16 v25, 0x21c, v25
	v_add_f16_e32 v14, v14, v28
	v_add_f16_e32 v10, v10, v12
	;; [unrolled: 1-line block ×3, first 2 shown]
	v_lshlrev_b32_sdwa v26, v9, v26 dst_sel:DWORD dst_unused:UNUSED_PAD src0_sel:DWORD src1_sel:WORD_0
	v_lshlrev_b32_sdwa v9, v9, v25 dst_sel:DWORD dst_unused:UNUSED_PAD src0_sel:DWORD src1_sel:WORD_0
	v_add_f16_e32 v11, v13, v15
	v_add_f16_e32 v8, v8, v29
	;; [unrolled: 1-line block ×3, first 2 shown]
	v_pack_b32_f16 v6, v6, v10
	v_add3_u32 v9, 0, v26, v9
	v_pack_b32_f16 v10, v11, v14
	v_perm_b32 v12, v20, v19, 0x5040100
	v_pack_b32_f16 v7, v7, v8
	v_perm_b32 v11, v24, v22, 0x5040100
	v_add_nc_u32_e32 v8, 0x200, v9
	v_perm_b32 v13, v23, v21, 0x5040100
	v_add_nc_u32_e32 v14, 0x400, v9
	ds_write2_b32 v9, v6, v10 offset1:90
	ds_write2_b32 v8, v7, v12 offset0:52 offset1:142
	ds_write2_b32 v14, v11, v13 offset0:104 offset1:194
.LBB0_31:
	s_or_b32 exec_lo, exec_lo, s2
	v_add_nc_u32_e32 v25, 0x500, v0
	v_add_nc_u32_e32 v26, 0x1000, v0
	v_add_nc_u32_e32 v27, 0xa00, v0
	s_waitcnt lgkmcnt(0)
	s_barrier
	buffer_gl0_inv
	ds_read2_b32 v[8:9], v0 offset1:162
	ds_read2_b32 v[6:7], v25 offset0:4 offset1:220
	ds_read2_b32 v[14:15], v26 offset0:56 offset1:218
	;; [unrolled: 1-line block ×3, first 2 shown]
	ds_read_b32 v28, v0 offset:5616
	s_and_saveexec_b32 s1, s0
	s_cbranch_execz .LBB0_33
; %bb.32:
	ds_read_b32 v19, v0 offset:1944
	ds_read_b32 v21, v0 offset:6264
	;; [unrolled: 1-line block ×3, first 2 shown]
	s_waitcnt lgkmcnt(2)
	v_lshrrev_b32_e32 v20, 16, v19
	s_waitcnt lgkmcnt(1)
	v_lshrrev_b32_e32 v23, 16, v21
	;; [unrolled: 2-line block ×3, first 2 shown]
.LBB0_33:
	s_or_b32 exec_lo, exec_lo, s1
	v_lshlrev_b32_e32 v10, 1, v5
	v_mov_b32_e32 v11, 0
	s_waitcnt lgkmcnt(3)
	v_lshrrev_b32_e32 v38, 16, v7
	s_waitcnt lgkmcnt(2)
	v_lshrrev_b32_e32 v40, 16, v14
	v_lshrrev_b32_e32 v37, 16, v15
	s_waitcnt lgkmcnt(1)
	v_lshrrev_b32_e32 v39, 16, v12
	v_lshlrev_b64 v[29:30], 2, v[10:11]
	v_lshlrev_b32_e32 v10, 1, v18
	s_waitcnt lgkmcnt(0)
	v_lshrrev_b32_e32 v35, 16, v28
	v_lshrrev_b32_e32 v36, 16, v13
	;; [unrolled: 1-line block ×3, first 2 shown]
	v_add_co_u32 v29, s1, s12, v29
	v_lshlrev_b64 v[31:32], 2, v[10:11]
	v_add_co_ci_u32_e64 v30, s1, s13, v30, s1
	v_lshlrev_b32_e32 v10, 1, v17
	v_add_co_u32 v29, s1, 0x800, v29
	v_add_co_ci_u32_e64 v30, s1, 0, v30, s1
	v_lshlrev_b64 v[17:18], 2, v[10:11]
	v_add_co_u32 v10, s1, s12, v31
	v_add_co_ci_u32_e64 v32, s1, s13, v32, s1
	global_load_dwordx2 v[29:30], v[29:30], off offset:72
	v_add_co_u32 v31, s1, 0x800, v10
	v_add_co_ci_u32_e64 v32, s1, 0, v32, s1
	v_add_co_u32 v10, s1, s12, v17
	v_add_co_ci_u32_e64 v33, s1, s13, v18, s1
	global_load_dwordx2 v[17:18], v[31:32], off offset:72
	v_add_co_u32 v31, s1, 0x800, v10
	v_add_co_ci_u32_e64 v32, s1, 0, v33, s1
	v_lshrrev_b32_e32 v10, 16, v8
	v_lshrrev_b32_e32 v33, 16, v9
	global_load_dwordx2 v[31:32], v[31:32], off offset:72
	s_waitcnt vmcnt(0)
	s_barrier
	buffer_gl0_inv
	v_mul_f16_sdwa v41, v29, v38 dst_sel:DWORD dst_unused:UNUSED_PAD src0_sel:WORD_1 src1_sel:DWORD
	v_mul_f16_sdwa v42, v29, v7 dst_sel:DWORD dst_unused:UNUSED_PAD src0_sel:WORD_1 src1_sel:DWORD
	;; [unrolled: 1-line block ×4, first 2 shown]
	v_fma_f16 v7, v29, v7, -v41
	v_fmac_f16_e32 v42, v29, v38
	v_fma_f16 v14, v30, v14, -v43
	v_fmac_f16_e32 v44, v30, v40
	v_mul_f16_sdwa v29, v17, v39 dst_sel:DWORD dst_unused:UNUSED_PAD src0_sel:WORD_1 src1_sel:DWORD
	v_mul_f16_sdwa v38, v17, v12 dst_sel:DWORD dst_unused:UNUSED_PAD src0_sel:WORD_1 src1_sel:DWORD
	;; [unrolled: 1-line block ×4, first 2 shown]
	v_sub_f16_e32 v40, v42, v44
	v_fma_f16 v12, v17, v12, -v29
	v_fmac_f16_e32 v38, v17, v39
	v_fma_f16 v15, v18, v15, -v41
	v_fmac_f16_e32 v43, v18, v37
	v_mul_f16_sdwa v17, v31, v36 dst_sel:DWORD dst_unused:UNUSED_PAD src0_sel:WORD_1 src1_sel:DWORD
	v_mul_f16_sdwa v18, v31, v13 dst_sel:DWORD dst_unused:UNUSED_PAD src0_sel:WORD_1 src1_sel:DWORD
	;; [unrolled: 1-line block ×4, first 2 shown]
	v_add_f16_e32 v41, v10, v42
	v_add_f16_e32 v42, v42, v44
	;; [unrolled: 1-line block ×4, first 2 shown]
	v_sub_f16_e32 v7, v7, v14
	v_fma_f16 v13, v31, v13, -v17
	v_fmac_f16_e32 v18, v31, v36
	v_fma_f16 v17, v32, v28, -v29
	v_fmac_f16_e32 v30, v32, v35
	v_fmac_f16_e32 v10, -0.5, v42
	v_add_f16_e32 v29, v9, v12
	v_add_f16_e32 v31, v12, v15
	;; [unrolled: 1-line block ×4, first 2 shown]
	v_fma_f16 v8, -0.5, v39, v8
	v_sub_f16_e32 v32, v38, v43
	v_sub_f16_e32 v12, v12, v15
	v_fmamk_f16 v38, v7, 0xbaee, v10
	v_fmac_f16_e32 v10, 0x3aee, v7
	v_add_f16_e32 v7, v29, v15
	v_fmac_f16_e32 v9, -0.5, v31
	v_add_f16_e32 v15, v35, v43
	v_fmac_f16_e32 v33, -0.5, v36
	v_add_f16_e32 v31, v13, v17
	v_sub_f16_e32 v35, v18, v30
	v_add_f16_e32 v36, v34, v18
	v_add_f16_e32 v18, v18, v30
	;; [unrolled: 1-line block ×5, first 2 shown]
	v_fmamk_f16 v37, v40, 0x3aee, v8
	v_fmac_f16_e32 v8, 0xbaee, v40
	v_sub_f16_e32 v13, v13, v17
	v_fmac_f16_e32 v6, -0.5, v31
	v_fmac_f16_e32 v34, -0.5, v18
	v_pack_b32_f16 v14, v14, v28
	v_fmamk_f16 v28, v32, 0x3aee, v9
	v_fmac_f16_e32 v9, 0xbaee, v32
	v_fmamk_f16 v32, v12, 0xbaee, v33
	v_fmac_f16_e32 v33, 0x3aee, v12
	v_add_f16_e32 v12, v29, v17
	v_add_f16_e32 v17, v36, v30
	v_pack_b32_f16 v8, v8, v10
	v_pack_b32_f16 v7, v7, v15
	v_fmamk_f16 v10, v35, 0x3aee, v6
	v_fmamk_f16 v15, v13, 0xbaee, v34
	v_fmac_f16_e32 v6, 0xbaee, v35
	v_fmac_f16_e32 v34, 0x3aee, v13
	v_pack_b32_f16 v9, v9, v33
	v_pack_b32_f16 v18, v37, v38
	;; [unrolled: 1-line block ×6, first 2 shown]
	ds_write2_b32 v0, v14, v7 offset1:162
	ds_write2_b32 v26, v8, v9 offset0:56 offset1:218
	ds_write2_b32 v25, v12, v18 offset0:4 offset1:220
	;; [unrolled: 1-line block ×3, first 2 shown]
	ds_write_b32 v0, v6 offset:5616
	s_and_saveexec_b32 s1, s0
	s_cbranch_execz .LBB0_35
; %bb.34:
	v_subrev_nc_u32_e32 v6, 54, v5
	v_cndmask_b32_e64 v6, v6, v16, s0
	v_lshlrev_b32_e32 v10, 1, v6
	v_lshlrev_b64 v[6:7], 2, v[10:11]
	v_add_co_u32 v6, s0, s12, v6
	v_add_co_ci_u32_e64 v7, s0, s13, v7, s0
	v_add_co_u32 v6, s0, 0x800, v6
	v_add_co_ci_u32_e64 v7, s0, 0, v7, s0
	global_load_dwordx2 v[6:7], v[6:7], off offset:72
	s_waitcnt vmcnt(0)
	v_mul_f16_sdwa v8, v24, v6 dst_sel:DWORD dst_unused:UNUSED_PAD src0_sel:DWORD src1_sel:WORD_1
	v_mul_f16_sdwa v9, v22, v6 dst_sel:DWORD dst_unused:UNUSED_PAD src0_sel:DWORD src1_sel:WORD_1
	;; [unrolled: 1-line block ×4, first 2 shown]
	v_fma_f16 v8, v22, v6, -v8
	v_fmac_f16_e32 v9, v24, v6
	v_fmac_f16_e32 v10, v23, v7
	v_fma_f16 v6, v21, v7, -v11
	v_add_f16_e32 v13, v20, v9
	v_add_f16_e32 v7, v9, v10
	;; [unrolled: 1-line block ×3, first 2 shown]
	v_sub_f16_e32 v11, v8, v6
	v_add_f16_e32 v8, v19, v8
	v_sub_f16_e32 v9, v9, v10
	v_fma_f16 v7, -0.5, v7, v20
	v_fma_f16 v12, -0.5, v12, v19
	v_add_f16_e32 v10, v13, v10
	v_add_f16_e32 v6, v8, v6
	v_fmamk_f16 v8, v11, 0x3aee, v7
	v_fmac_f16_e32 v7, 0xbaee, v11
	v_fmamk_f16 v11, v9, 0xbaee, v12
	v_fmac_f16_e32 v12, 0x3aee, v9
	v_pack_b32_f16 v6, v6, v10
	v_pack_b32_f16 v8, v11, v8
	v_pack_b32_f16 v7, v12, v7
	ds_write_b32 v0, v6 offset:1944
	ds_write_b32 v0, v7 offset:4104
	;; [unrolled: 1-line block ×3, first 2 shown]
.LBB0_35:
	s_or_b32 exec_lo, exec_lo, s1
	s_waitcnt lgkmcnt(0)
	s_barrier
	buffer_gl0_inv
	s_and_saveexec_b32 s0, vcc_lo
	s_cbranch_execz .LBB0_37
; %bb.36:
	v_mul_lo_u32 v0, s5, v3
	v_mul_lo_u32 v6, s4, v4
	v_mad_u64_u32 v[3:4], null, s4, v3, 0
	v_lshl_add_u32 v19, v5, 2, 0
	v_add_nc_u32_e32 v7, 0xa2, v5
	v_add_nc_u32_e32 v9, 0x144, v5
	;; [unrolled: 1-line block ×4, first 2 shown]
	ds_read2_b32 v[11:12], v19 offset1:162
	v_add3_u32 v4, v4, v6, v0
	v_lshlrev_b64 v[0:1], 2, v[1:2]
	v_mov_b32_e32 v6, 0
	v_lshlrev_b64 v[2:3], 2, v[3:4]
	v_mov_b32_e32 v10, v6
	v_mov_b32_e32 v14, v6
	;; [unrolled: 1-line block ×3, first 2 shown]
	v_add_co_u32 v4, vcc_lo, s10, v2
	v_add_co_ci_u32_e32 v8, vcc_lo, s11, v3, vcc_lo
	v_lshlrev_b64 v[2:3], 2, v[5:6]
	v_add_co_u32 v20, vcc_lo, v4, v0
	v_add_co_ci_u32_e32 v21, vcc_lo, v8, v1, vcc_lo
	v_mov_b32_e32 v8, v6
	v_add_co_u32 v0, vcc_lo, v20, v2
	v_add_co_ci_u32_e32 v1, vcc_lo, v21, v3, vcc_lo
	v_lshlrev_b64 v[2:3], 2, v[7:8]
	v_add_nc_u32_e32 v4, 0x400, v19
	v_lshlrev_b64 v[7:8], 2, v[9:10]
	s_waitcnt lgkmcnt(0)
	global_store_dword v[0:1], v11, off
	v_add_nc_u32_e32 v11, 0xa00, v19
	v_lshlrev_b64 v[9:10], 2, v[13:14]
	v_add_co_u32 v0, vcc_lo, v20, v2
	v_add_co_ci_u32_e32 v1, vcc_lo, v21, v3, vcc_lo
	ds_read2_b32 v[2:3], v4 offset0:68 offset1:230
	ds_read2_b32 v[15:16], v11 offset0:8 offset1:170
	v_add_nc_u32_e32 v13, 0x288, v5
	v_add_co_u32 v7, vcc_lo, v20, v7
	v_add_co_ci_u32_e32 v8, vcc_lo, v21, v8, vcc_lo
	v_lshlrev_b64 v[13:14], 2, v[13:14]
	v_add_co_u32 v9, vcc_lo, v20, v9
	v_add_co_ci_u32_e32 v10, vcc_lo, v21, v10, vcc_lo
	v_add_nc_u32_e32 v4, 0xe00, v19
	v_add_co_u32 v13, vcc_lo, v20, v13
	v_add_co_ci_u32_e32 v14, vcc_lo, v21, v14, vcc_lo
	global_store_dword v[0:1], v12, off
	s_waitcnt lgkmcnt(1)
	global_store_dword v[7:8], v2, off
	global_store_dword v[9:10], v3, off
	s_waitcnt lgkmcnt(0)
	global_store_dword v[13:14], v15, off
	v_add_nc_u32_e32 v2, 0x3cc, v5
	v_mov_b32_e32 v3, v6
	ds_read2_b32 v[9:10], v4 offset0:76 offset1:238
	v_add_nc_u32_e32 v4, 0x1400, v19
	v_lshlrev_b64 v[0:1], 2, v[17:18]
	v_add_nc_u32_e32 v7, 0x46e, v5
	v_mov_b32_e32 v8, v6
	v_lshlrev_b64 v[2:3], 2, v[2:3]
	v_add_nc_u32_e32 v11, 0x510, v5
	v_mov_b32_e32 v12, v6
	ds_read2_b32 v[13:14], v4 offset0:16 offset1:178
	v_add_co_u32 v0, vcc_lo, v20, v0
	v_lshlrev_b64 v[7:8], 2, v[7:8]
	v_add_nc_u32_e32 v5, 0x5b2, v5
	v_add_co_ci_u32_e32 v1, vcc_lo, v21, v1, vcc_lo
	v_add_co_u32 v2, vcc_lo, v20, v2
	v_lshlrev_b64 v[11:12], 2, v[11:12]
	v_add_co_ci_u32_e32 v3, vcc_lo, v21, v3, vcc_lo
	v_add_co_u32 v7, vcc_lo, v20, v7
	v_lshlrev_b64 v[4:5], 2, v[5:6]
	v_add_co_ci_u32_e32 v8, vcc_lo, v21, v8, vcc_lo
	v_add_co_u32 v11, vcc_lo, v20, v11
	v_add_co_ci_u32_e32 v12, vcc_lo, v21, v12, vcc_lo
	v_add_co_u32 v4, vcc_lo, v20, v4
	v_add_co_ci_u32_e32 v5, vcc_lo, v21, v5, vcc_lo
	global_store_dword v[0:1], v16, off
	s_waitcnt lgkmcnt(1)
	global_store_dword v[2:3], v9, off
	global_store_dword v[7:8], v10, off
	s_waitcnt lgkmcnt(0)
	global_store_dword v[11:12], v13, off
	global_store_dword v[4:5], v14, off
.LBB0_37:
	s_endpgm
	.section	.rodata,"a",@progbits
	.p2align	6, 0x0
	.amdhsa_kernel fft_rtc_fwd_len1620_factors_10_3_3_6_3_wgs_162_tpt_162_halfLds_half_op_CI_CI_unitstride_sbrr_C2R_dirReg
		.amdhsa_group_segment_fixed_size 0
		.amdhsa_private_segment_fixed_size 0
		.amdhsa_kernarg_size 104
		.amdhsa_user_sgpr_count 6
		.amdhsa_user_sgpr_private_segment_buffer 1
		.amdhsa_user_sgpr_dispatch_ptr 0
		.amdhsa_user_sgpr_queue_ptr 0
		.amdhsa_user_sgpr_kernarg_segment_ptr 1
		.amdhsa_user_sgpr_dispatch_id 0
		.amdhsa_user_sgpr_flat_scratch_init 0
		.amdhsa_user_sgpr_private_segment_size 0
		.amdhsa_wavefront_size32 1
		.amdhsa_uses_dynamic_stack 0
		.amdhsa_system_sgpr_private_segment_wavefront_offset 0
		.amdhsa_system_sgpr_workgroup_id_x 1
		.amdhsa_system_sgpr_workgroup_id_y 0
		.amdhsa_system_sgpr_workgroup_id_z 0
		.amdhsa_system_sgpr_workgroup_info 0
		.amdhsa_system_vgpr_workitem_id 0
		.amdhsa_next_free_vgpr 64
		.amdhsa_next_free_sgpr 27
		.amdhsa_reserve_vcc 1
		.amdhsa_reserve_flat_scratch 0
		.amdhsa_float_round_mode_32 0
		.amdhsa_float_round_mode_16_64 0
		.amdhsa_float_denorm_mode_32 3
		.amdhsa_float_denorm_mode_16_64 3
		.amdhsa_dx10_clamp 1
		.amdhsa_ieee_mode 1
		.amdhsa_fp16_overflow 0
		.amdhsa_workgroup_processor_mode 1
		.amdhsa_memory_ordered 1
		.amdhsa_forward_progress 0
		.amdhsa_shared_vgpr_count 0
		.amdhsa_exception_fp_ieee_invalid_op 0
		.amdhsa_exception_fp_denorm_src 0
		.amdhsa_exception_fp_ieee_div_zero 0
		.amdhsa_exception_fp_ieee_overflow 0
		.amdhsa_exception_fp_ieee_underflow 0
		.amdhsa_exception_fp_ieee_inexact 0
		.amdhsa_exception_int_div_zero 0
	.end_amdhsa_kernel
	.text
.Lfunc_end0:
	.size	fft_rtc_fwd_len1620_factors_10_3_3_6_3_wgs_162_tpt_162_halfLds_half_op_CI_CI_unitstride_sbrr_C2R_dirReg, .Lfunc_end0-fft_rtc_fwd_len1620_factors_10_3_3_6_3_wgs_162_tpt_162_halfLds_half_op_CI_CI_unitstride_sbrr_C2R_dirReg
                                        ; -- End function
	.section	.AMDGPU.csdata,"",@progbits
; Kernel info:
; codeLenInByte = 9400
; NumSgprs: 29
; NumVgprs: 64
; ScratchSize: 0
; MemoryBound: 0
; FloatMode: 240
; IeeeMode: 1
; LDSByteSize: 0 bytes/workgroup (compile time only)
; SGPRBlocks: 3
; VGPRBlocks: 7
; NumSGPRsForWavesPerEU: 29
; NumVGPRsForWavesPerEU: 64
; Occupancy: 15
; WaveLimiterHint : 1
; COMPUTE_PGM_RSRC2:SCRATCH_EN: 0
; COMPUTE_PGM_RSRC2:USER_SGPR: 6
; COMPUTE_PGM_RSRC2:TRAP_HANDLER: 0
; COMPUTE_PGM_RSRC2:TGID_X_EN: 1
; COMPUTE_PGM_RSRC2:TGID_Y_EN: 0
; COMPUTE_PGM_RSRC2:TGID_Z_EN: 0
; COMPUTE_PGM_RSRC2:TIDIG_COMP_CNT: 0
	.text
	.p2alignl 6, 3214868480
	.fill 48, 4, 3214868480
	.type	__hip_cuid_27a50aeb8a96916f,@object ; @__hip_cuid_27a50aeb8a96916f
	.section	.bss,"aw",@nobits
	.globl	__hip_cuid_27a50aeb8a96916f
__hip_cuid_27a50aeb8a96916f:
	.byte	0                               ; 0x0
	.size	__hip_cuid_27a50aeb8a96916f, 1

	.ident	"AMD clang version 19.0.0git (https://github.com/RadeonOpenCompute/llvm-project roc-6.4.0 25133 c7fe45cf4b819c5991fe208aaa96edf142730f1d)"
	.section	".note.GNU-stack","",@progbits
	.addrsig
	.addrsig_sym __hip_cuid_27a50aeb8a96916f
	.amdgpu_metadata
---
amdhsa.kernels:
  - .args:
      - .actual_access:  read_only
        .address_space:  global
        .offset:         0
        .size:           8
        .value_kind:     global_buffer
      - .offset:         8
        .size:           8
        .value_kind:     by_value
      - .actual_access:  read_only
        .address_space:  global
        .offset:         16
        .size:           8
        .value_kind:     global_buffer
      - .actual_access:  read_only
        .address_space:  global
        .offset:         24
        .size:           8
        .value_kind:     global_buffer
      - .actual_access:  read_only
        .address_space:  global
        .offset:         32
        .size:           8
        .value_kind:     global_buffer
      - .offset:         40
        .size:           8
        .value_kind:     by_value
      - .actual_access:  read_only
        .address_space:  global
        .offset:         48
        .size:           8
        .value_kind:     global_buffer
      - .actual_access:  read_only
        .address_space:  global
        .offset:         56
        .size:           8
        .value_kind:     global_buffer
      - .offset:         64
        .size:           4
        .value_kind:     by_value
      - .actual_access:  read_only
        .address_space:  global
        .offset:         72
        .size:           8
        .value_kind:     global_buffer
      - .actual_access:  read_only
        .address_space:  global
        .offset:         80
        .size:           8
        .value_kind:     global_buffer
      - .actual_access:  read_only
        .address_space:  global
        .offset:         88
        .size:           8
        .value_kind:     global_buffer
      - .actual_access:  write_only
        .address_space:  global
        .offset:         96
        .size:           8
        .value_kind:     global_buffer
    .group_segment_fixed_size: 0
    .kernarg_segment_align: 8
    .kernarg_segment_size: 104
    .language:       OpenCL C
    .language_version:
      - 2
      - 0
    .max_flat_workgroup_size: 162
    .name:           fft_rtc_fwd_len1620_factors_10_3_3_6_3_wgs_162_tpt_162_halfLds_half_op_CI_CI_unitstride_sbrr_C2R_dirReg
    .private_segment_fixed_size: 0
    .sgpr_count:     29
    .sgpr_spill_count: 0
    .symbol:         fft_rtc_fwd_len1620_factors_10_3_3_6_3_wgs_162_tpt_162_halfLds_half_op_CI_CI_unitstride_sbrr_C2R_dirReg.kd
    .uniform_work_group_size: 1
    .uses_dynamic_stack: false
    .vgpr_count:     64
    .vgpr_spill_count: 0
    .wavefront_size: 32
    .workgroup_processor_mode: 1
amdhsa.target:   amdgcn-amd-amdhsa--gfx1030
amdhsa.version:
  - 1
  - 2
...

	.end_amdgpu_metadata
